;; amdgpu-corpus repo=ROCm/rocFFT kind=compiled arch=gfx1100 opt=O3
	.text
	.amdgcn_target "amdgcn-amd-amdhsa--gfx1100"
	.amdhsa_code_object_version 6
	.protected	fft_rtc_fwd_len735_factors_7_3_5_7_wgs_147_tpt_147_sp_op_CI_CI_unitstride_sbrr_dirReg ; -- Begin function fft_rtc_fwd_len735_factors_7_3_5_7_wgs_147_tpt_147_sp_op_CI_CI_unitstride_sbrr_dirReg
	.globl	fft_rtc_fwd_len735_factors_7_3_5_7_wgs_147_tpt_147_sp_op_CI_CI_unitstride_sbrr_dirReg
	.p2align	8
	.type	fft_rtc_fwd_len735_factors_7_3_5_7_wgs_147_tpt_147_sp_op_CI_CI_unitstride_sbrr_dirReg,@function
fft_rtc_fwd_len735_factors_7_3_5_7_wgs_147_tpt_147_sp_op_CI_CI_unitstride_sbrr_dirReg: ; @fft_rtc_fwd_len735_factors_7_3_5_7_wgs_147_tpt_147_sp_op_CI_CI_unitstride_sbrr_dirReg
; %bb.0:
	s_clause 0x2
	s_load_b128 s[8:11], s[0:1], 0x0
	s_load_b128 s[4:7], s[0:1], 0x58
	;; [unrolled: 1-line block ×3, first 2 shown]
	v_mul_u32_u24_e32 v1, 0x1be, v0
	v_mov_b32_e32 v3, 0
	s_delay_alu instid0(VALU_DEP_2) | instskip(NEXT) | instid1(VALU_DEP_1)
	v_lshrrev_b32_e32 v1, 16, v1
	v_add_nc_u32_e32 v5, s15, v1
	v_mov_b32_e32 v1, 0
	v_mov_b32_e32 v2, 0
	;; [unrolled: 1-line block ×3, first 2 shown]
	s_waitcnt lgkmcnt(0)
	v_cmp_lt_u64_e64 s2, s[10:11], 2
	s_delay_alu instid0(VALU_DEP_1)
	s_and_b32 vcc_lo, exec_lo, s2
	s_cbranch_vccnz .LBB0_8
; %bb.1:
	s_load_b64 s[2:3], s[0:1], 0x10
	v_mov_b32_e32 v1, 0
	v_mov_b32_e32 v2, 0
	s_add_u32 s12, s18, 8
	s_addc_u32 s13, s19, 0
	s_add_u32 s14, s16, 8
	s_addc_u32 s15, s17, 0
	v_dual_mov_b32 v13, v2 :: v_dual_mov_b32 v12, v1
	s_mov_b64 s[22:23], 1
	s_waitcnt lgkmcnt(0)
	s_add_u32 s20, s2, 8
	s_addc_u32 s21, s3, 0
.LBB0_2:                                ; =>This Inner Loop Header: Depth=1
	s_load_b64 s[24:25], s[20:21], 0x0
                                        ; implicit-def: $vgpr16_vgpr17
	s_mov_b32 s2, exec_lo
	s_waitcnt lgkmcnt(0)
	v_or_b32_e32 v4, s25, v6
	s_delay_alu instid0(VALU_DEP_1)
	v_cmpx_ne_u64_e32 0, v[3:4]
	s_xor_b32 s3, exec_lo, s2
	s_cbranch_execz .LBB0_4
; %bb.3:                                ;   in Loop: Header=BB0_2 Depth=1
	v_cvt_f32_u32_e32 v4, s24
	v_cvt_f32_u32_e32 v7, s25
	s_sub_u32 s2, 0, s24
	s_subb_u32 s26, 0, s25
	s_delay_alu instid0(VALU_DEP_1) | instskip(NEXT) | instid1(VALU_DEP_1)
	v_fmac_f32_e32 v4, 0x4f800000, v7
	v_rcp_f32_e32 v4, v4
	s_waitcnt_depctr 0xfff
	v_mul_f32_e32 v4, 0x5f7ffffc, v4
	s_delay_alu instid0(VALU_DEP_1) | instskip(NEXT) | instid1(VALU_DEP_1)
	v_mul_f32_e32 v7, 0x2f800000, v4
	v_trunc_f32_e32 v7, v7
	s_delay_alu instid0(VALU_DEP_1) | instskip(SKIP_1) | instid1(VALU_DEP_2)
	v_fmac_f32_e32 v4, 0xcf800000, v7
	v_cvt_u32_f32_e32 v7, v7
	v_cvt_u32_f32_e32 v4, v4
	s_delay_alu instid0(VALU_DEP_2) | instskip(NEXT) | instid1(VALU_DEP_2)
	v_mul_lo_u32 v8, s2, v7
	v_mul_hi_u32 v9, s2, v4
	v_mul_lo_u32 v10, s26, v4
	s_delay_alu instid0(VALU_DEP_2) | instskip(SKIP_1) | instid1(VALU_DEP_2)
	v_add_nc_u32_e32 v8, v9, v8
	v_mul_lo_u32 v9, s2, v4
	v_add_nc_u32_e32 v8, v8, v10
	s_delay_alu instid0(VALU_DEP_2) | instskip(NEXT) | instid1(VALU_DEP_2)
	v_mul_hi_u32 v10, v4, v9
	v_mul_lo_u32 v11, v4, v8
	v_mul_hi_u32 v14, v4, v8
	v_mul_hi_u32 v15, v7, v9
	v_mul_lo_u32 v9, v7, v9
	v_mul_hi_u32 v16, v7, v8
	v_mul_lo_u32 v8, v7, v8
	v_add_co_u32 v10, vcc_lo, v10, v11
	v_add_co_ci_u32_e32 v11, vcc_lo, 0, v14, vcc_lo
	s_delay_alu instid0(VALU_DEP_2) | instskip(NEXT) | instid1(VALU_DEP_2)
	v_add_co_u32 v9, vcc_lo, v10, v9
	v_add_co_ci_u32_e32 v9, vcc_lo, v11, v15, vcc_lo
	v_add_co_ci_u32_e32 v10, vcc_lo, 0, v16, vcc_lo
	s_delay_alu instid0(VALU_DEP_2) | instskip(NEXT) | instid1(VALU_DEP_2)
	v_add_co_u32 v8, vcc_lo, v9, v8
	v_add_co_ci_u32_e32 v9, vcc_lo, 0, v10, vcc_lo
	s_delay_alu instid0(VALU_DEP_2) | instskip(NEXT) | instid1(VALU_DEP_2)
	v_add_co_u32 v4, vcc_lo, v4, v8
	v_add_co_ci_u32_e32 v7, vcc_lo, v7, v9, vcc_lo
	s_delay_alu instid0(VALU_DEP_2) | instskip(SKIP_1) | instid1(VALU_DEP_3)
	v_mul_hi_u32 v8, s2, v4
	v_mul_lo_u32 v10, s26, v4
	v_mul_lo_u32 v9, s2, v7
	s_delay_alu instid0(VALU_DEP_1) | instskip(SKIP_1) | instid1(VALU_DEP_2)
	v_add_nc_u32_e32 v8, v8, v9
	v_mul_lo_u32 v9, s2, v4
	v_add_nc_u32_e32 v8, v8, v10
	s_delay_alu instid0(VALU_DEP_2) | instskip(NEXT) | instid1(VALU_DEP_2)
	v_mul_hi_u32 v10, v4, v9
	v_mul_lo_u32 v11, v4, v8
	v_mul_hi_u32 v14, v4, v8
	v_mul_hi_u32 v15, v7, v9
	v_mul_lo_u32 v9, v7, v9
	v_mul_hi_u32 v16, v7, v8
	v_mul_lo_u32 v8, v7, v8
	v_add_co_u32 v10, vcc_lo, v10, v11
	v_add_co_ci_u32_e32 v11, vcc_lo, 0, v14, vcc_lo
	s_delay_alu instid0(VALU_DEP_2) | instskip(NEXT) | instid1(VALU_DEP_2)
	v_add_co_u32 v9, vcc_lo, v10, v9
	v_add_co_ci_u32_e32 v9, vcc_lo, v11, v15, vcc_lo
	v_add_co_ci_u32_e32 v10, vcc_lo, 0, v16, vcc_lo
	s_delay_alu instid0(VALU_DEP_2) | instskip(NEXT) | instid1(VALU_DEP_2)
	v_add_co_u32 v8, vcc_lo, v9, v8
	v_add_co_ci_u32_e32 v9, vcc_lo, 0, v10, vcc_lo
	s_delay_alu instid0(VALU_DEP_2) | instskip(NEXT) | instid1(VALU_DEP_2)
	v_add_co_u32 v4, vcc_lo, v4, v8
	v_add_co_ci_u32_e32 v11, vcc_lo, v7, v9, vcc_lo
	s_delay_alu instid0(VALU_DEP_2) | instskip(SKIP_1) | instid1(VALU_DEP_3)
	v_mul_hi_u32 v16, v5, v4
	v_mad_u64_u32 v[9:10], null, v6, v4, 0
	v_mad_u64_u32 v[7:8], null, v5, v11, 0
	;; [unrolled: 1-line block ×3, first 2 shown]
	s_delay_alu instid0(VALU_DEP_2) | instskip(NEXT) | instid1(VALU_DEP_3)
	v_add_co_u32 v4, vcc_lo, v16, v7
	v_add_co_ci_u32_e32 v7, vcc_lo, 0, v8, vcc_lo
	s_delay_alu instid0(VALU_DEP_2) | instskip(NEXT) | instid1(VALU_DEP_2)
	v_add_co_u32 v4, vcc_lo, v4, v9
	v_add_co_ci_u32_e32 v4, vcc_lo, v7, v10, vcc_lo
	v_add_co_ci_u32_e32 v7, vcc_lo, 0, v15, vcc_lo
	s_delay_alu instid0(VALU_DEP_2) | instskip(NEXT) | instid1(VALU_DEP_2)
	v_add_co_u32 v4, vcc_lo, v4, v14
	v_add_co_ci_u32_e32 v9, vcc_lo, 0, v7, vcc_lo
	s_delay_alu instid0(VALU_DEP_2) | instskip(SKIP_1) | instid1(VALU_DEP_3)
	v_mul_lo_u32 v10, s25, v4
	v_mad_u64_u32 v[7:8], null, s24, v4, 0
	v_mul_lo_u32 v11, s24, v9
	s_delay_alu instid0(VALU_DEP_2) | instskip(NEXT) | instid1(VALU_DEP_2)
	v_sub_co_u32 v7, vcc_lo, v5, v7
	v_add3_u32 v8, v8, v11, v10
	s_delay_alu instid0(VALU_DEP_1) | instskip(NEXT) | instid1(VALU_DEP_1)
	v_sub_nc_u32_e32 v10, v6, v8
	v_subrev_co_ci_u32_e64 v10, s2, s25, v10, vcc_lo
	v_add_co_u32 v11, s2, v4, 2
	s_delay_alu instid0(VALU_DEP_1) | instskip(SKIP_3) | instid1(VALU_DEP_3)
	v_add_co_ci_u32_e64 v14, s2, 0, v9, s2
	v_sub_co_u32 v15, s2, v7, s24
	v_sub_co_ci_u32_e32 v8, vcc_lo, v6, v8, vcc_lo
	v_subrev_co_ci_u32_e64 v10, s2, 0, v10, s2
	v_cmp_le_u32_e32 vcc_lo, s24, v15
	s_delay_alu instid0(VALU_DEP_3) | instskip(SKIP_1) | instid1(VALU_DEP_4)
	v_cmp_eq_u32_e64 s2, s25, v8
	v_cndmask_b32_e64 v15, 0, -1, vcc_lo
	v_cmp_le_u32_e32 vcc_lo, s25, v10
	v_cndmask_b32_e64 v16, 0, -1, vcc_lo
	v_cmp_le_u32_e32 vcc_lo, s24, v7
	;; [unrolled: 2-line block ×3, first 2 shown]
	v_cndmask_b32_e64 v17, 0, -1, vcc_lo
	v_cmp_eq_u32_e32 vcc_lo, s25, v10
	s_delay_alu instid0(VALU_DEP_2) | instskip(SKIP_3) | instid1(VALU_DEP_3)
	v_cndmask_b32_e64 v7, v17, v7, s2
	v_cndmask_b32_e32 v10, v16, v15, vcc_lo
	v_add_co_u32 v15, vcc_lo, v4, 1
	v_add_co_ci_u32_e32 v16, vcc_lo, 0, v9, vcc_lo
	v_cmp_ne_u32_e32 vcc_lo, 0, v10
	s_delay_alu instid0(VALU_DEP_2) | instskip(NEXT) | instid1(VALU_DEP_4)
	v_cndmask_b32_e32 v8, v16, v14, vcc_lo
	v_cndmask_b32_e32 v10, v15, v11, vcc_lo
	v_cmp_ne_u32_e32 vcc_lo, 0, v7
	s_delay_alu instid0(VALU_DEP_2)
	v_dual_cndmask_b32 v17, v9, v8 :: v_dual_cndmask_b32 v16, v4, v10
.LBB0_4:                                ;   in Loop: Header=BB0_2 Depth=1
	s_and_not1_saveexec_b32 s2, s3
	s_cbranch_execz .LBB0_6
; %bb.5:                                ;   in Loop: Header=BB0_2 Depth=1
	v_cvt_f32_u32_e32 v4, s24
	s_sub_i32 s3, 0, s24
	v_mov_b32_e32 v17, v3
	s_delay_alu instid0(VALU_DEP_2) | instskip(SKIP_2) | instid1(VALU_DEP_1)
	v_rcp_iflag_f32_e32 v4, v4
	s_waitcnt_depctr 0xfff
	v_mul_f32_e32 v4, 0x4f7ffffe, v4
	v_cvt_u32_f32_e32 v4, v4
	s_delay_alu instid0(VALU_DEP_1) | instskip(NEXT) | instid1(VALU_DEP_1)
	v_mul_lo_u32 v7, s3, v4
	v_mul_hi_u32 v7, v4, v7
	s_delay_alu instid0(VALU_DEP_1) | instskip(NEXT) | instid1(VALU_DEP_1)
	v_add_nc_u32_e32 v4, v4, v7
	v_mul_hi_u32 v4, v5, v4
	s_delay_alu instid0(VALU_DEP_1) | instskip(SKIP_1) | instid1(VALU_DEP_2)
	v_mul_lo_u32 v7, v4, s24
	v_add_nc_u32_e32 v8, 1, v4
	v_sub_nc_u32_e32 v7, v5, v7
	s_delay_alu instid0(VALU_DEP_1) | instskip(SKIP_1) | instid1(VALU_DEP_2)
	v_subrev_nc_u32_e32 v9, s24, v7
	v_cmp_le_u32_e32 vcc_lo, s24, v7
	v_dual_cndmask_b32 v7, v7, v9 :: v_dual_cndmask_b32 v4, v4, v8
	s_delay_alu instid0(VALU_DEP_1) | instskip(NEXT) | instid1(VALU_DEP_2)
	v_cmp_le_u32_e32 vcc_lo, s24, v7
	v_add_nc_u32_e32 v8, 1, v4
	s_delay_alu instid0(VALU_DEP_1)
	v_cndmask_b32_e32 v16, v4, v8, vcc_lo
.LBB0_6:                                ;   in Loop: Header=BB0_2 Depth=1
	s_or_b32 exec_lo, exec_lo, s2
	s_delay_alu instid0(VALU_DEP_1) | instskip(NEXT) | instid1(VALU_DEP_2)
	v_mul_lo_u32 v4, v17, s24
	v_mul_lo_u32 v9, v16, s25
	s_load_b64 s[2:3], s[14:15], 0x0
	v_mad_u64_u32 v[7:8], null, v16, s24, 0
	s_load_b64 s[24:25], s[12:13], 0x0
	s_add_u32 s22, s22, 1
	s_addc_u32 s23, s23, 0
	s_add_u32 s12, s12, 8
	s_addc_u32 s13, s13, 0
	s_add_u32 s14, s14, 8
	s_delay_alu instid0(VALU_DEP_1) | instskip(SKIP_3) | instid1(VALU_DEP_2)
	v_add3_u32 v4, v8, v9, v4
	v_sub_co_u32 v8, vcc_lo, v5, v7
	s_addc_u32 s15, s15, 0
	s_add_u32 s20, s20, 8
	v_sub_co_ci_u32_e32 v6, vcc_lo, v6, v4, vcc_lo
	s_addc_u32 s21, s21, 0
	s_waitcnt lgkmcnt(0)
	s_delay_alu instid0(VALU_DEP_1)
	v_mul_lo_u32 v9, s2, v6
	v_mul_lo_u32 v10, s3, v8
	v_mad_u64_u32 v[4:5], null, s2, v8, v[1:2]
	v_mul_lo_u32 v11, s24, v6
	v_mul_lo_u32 v14, s25, v8
	v_mad_u64_u32 v[6:7], null, s24, v8, v[12:13]
	v_cmp_ge_u64_e64 s2, s[22:23], s[10:11]
	v_add3_u32 v2, v10, v5, v9
	s_delay_alu instid0(VALU_DEP_3) | instskip(NEXT) | instid1(VALU_DEP_4)
	v_dual_mov_b32 v1, v4 :: v_dual_mov_b32 v12, v6
	v_add3_u32 v13, v14, v7, v11
	s_delay_alu instid0(VALU_DEP_4)
	s_and_b32 vcc_lo, exec_lo, s2
	s_cbranch_vccnz .LBB0_9
; %bb.7:                                ;   in Loop: Header=BB0_2 Depth=1
	v_dual_mov_b32 v5, v16 :: v_dual_mov_b32 v6, v17
	s_branch .LBB0_2
.LBB0_8:
	v_dual_mov_b32 v13, v2 :: v_dual_mov_b32 v12, v1
	v_dual_mov_b32 v17, v6 :: v_dual_mov_b32 v16, v5
.LBB0_9:
	s_load_b64 s[0:1], s[0:1], 0x28
	v_mul_hi_u32 v3, 0x1bdd2b9, v0
	s_lshl_b64 s[10:11], s[10:11], 3
	v_mov_b32_e32 v4, 0
	v_dual_mov_b32 v6, 0 :: v_dual_mov_b32 v5, 0
	v_dual_mov_b32 v8, 0 :: v_dual_mov_b32 v7, 0
	;; [unrolled: 1-line block ×3, first 2 shown]
	v_mul_u32_u24_e32 v3, 0x93, v3
	s_add_u32 s2, s18, s10
	s_addc_u32 s3, s19, s11
                                        ; implicit-def: $vgpr23
                                        ; implicit-def: $vgpr21
                                        ; implicit-def: $vgpr19
	s_delay_alu instid0(VALU_DEP_1) | instskip(SKIP_1) | instid1(VALU_DEP_2)
	v_sub_nc_u32_e32 v14, v0, v3
	v_mov_b32_e32 v3, 0
	v_cmp_gt_u32_e32 vcc_lo, 0x69, v14
	s_waitcnt lgkmcnt(0)
	v_cmp_gt_u64_e64 s0, s[0:1], v[16:17]
	s_delay_alu instid0(VALU_DEP_1) | instskip(NEXT) | instid1(SALU_CYCLE_1)
	s_and_b32 s1, s0, vcc_lo
	s_and_saveexec_b32 s12, s1
	s_cbranch_execz .LBB0_11
; %bb.10:
	s_add_u32 s10, s16, s10
	s_addc_u32 s11, s17, s11
	v_mov_b32_e32 v15, 0
	s_load_b64 s[10:11], s[10:11], 0x0
	s_waitcnt lgkmcnt(0)
	v_mul_lo_u32 v0, s11, v16
	v_mul_lo_u32 v5, s10, v17
	v_mad_u64_u32 v[3:4], null, s10, v16, 0
	s_delay_alu instid0(VALU_DEP_1) | instskip(SKIP_1) | instid1(VALU_DEP_2)
	v_add3_u32 v4, v4, v5, v0
	v_lshlrev_b64 v[0:1], 3, v[1:2]
	v_lshlrev_b64 v[3:4], 3, v[3:4]
	s_delay_alu instid0(VALU_DEP_1) | instskip(NEXT) | instid1(VALU_DEP_1)
	v_add_co_u32 v5, s0, s4, v3
	v_add_co_ci_u32_e64 v4, s0, s5, v4, s0
	v_lshlrev_b64 v[2:3], 3, v[14:15]
	s_delay_alu instid0(VALU_DEP_3) | instskip(NEXT) | instid1(VALU_DEP_1)
	v_add_co_u32 v0, s0, v5, v0
	v_add_co_ci_u32_e64 v1, s0, v4, v1, s0
	s_delay_alu instid0(VALU_DEP_2) | instskip(NEXT) | instid1(VALU_DEP_1)
	v_add_co_u32 v0, s0, v0, v2
	v_add_co_ci_u32_e64 v1, s0, v1, v3, s0
	s_delay_alu instid0(VALU_DEP_2) | instskip(NEXT) | instid1(VALU_DEP_1)
	v_add_co_u32 v22, s0, 0x1000, v0
	v_add_co_ci_u32_e64 v23, s0, 0, v1, s0
	s_clause 0x6
	global_load_b64 v[3:4], v[0:1], off
	global_load_b64 v[5:6], v[0:1], off offset:840
	global_load_b64 v[7:8], v[0:1], off offset:1680
	;; [unrolled: 1-line block ×6, first 2 shown]
.LBB0_11:
	s_or_b32 exec_lo, exec_lo, s12
	s_waitcnt vmcnt(0)
	v_dual_add_f32 v0, v5, v22 :: v_dual_add_f32 v1, v6, v23
	v_dual_sub_f32 v2, v5, v22 :: v_dual_sub_f32 v5, v6, v23
	v_dual_add_f32 v6, v7, v20 :: v_dual_add_f32 v11, v8, v21
	v_dual_sub_f32 v7, v7, v20 :: v_dual_sub_f32 v8, v8, v21
	;; [unrolled: 2-line block ×3, first 2 shown]
	s_delay_alu instid0(VALU_DEP_4) | instskip(SKIP_1) | instid1(VALU_DEP_4)
	v_dual_add_f32 v18, v0, v6 :: v_dual_add_f32 v19, v1, v11
	v_dual_sub_f32 v21, v6, v0 :: v_dual_sub_f32 v22, v11, v1
	v_dual_sub_f32 v0, v0, v15 :: v_dual_sub_f32 v1, v1, v20
	s_delay_alu instid0(VALU_DEP_4) | instskip(SKIP_3) | instid1(VALU_DEP_2)
	v_dual_sub_f32 v23, v15, v6 :: v_dual_sub_f32 v26, v10, v8
	v_dual_sub_f32 v11, v20, v11 :: v_dual_add_f32 v6, v7, v9
	v_dual_add_f32 v24, v8, v10 :: v_dual_sub_f32 v25, v9, v7
	v_dual_sub_f32 v27, v7, v2 :: v_dual_sub_f32 v8, v8, v5
	v_dual_add_f32 v7, v18, v15 :: v_dual_add_f32 v18, v5, v24
	v_add_f32_e32 v15, v19, v20
	v_dual_sub_f32 v9, v2, v9 :: v_dual_sub_f32 v10, v5, v10
	s_delay_alu instid0(VALU_DEP_3) | instskip(NEXT) | instid1(VALU_DEP_3)
	v_dual_add_f32 v2, v2, v6 :: v_dual_add_f32 v5, v3, v7
	v_dual_add_f32 v6, v4, v15 :: v_dual_mul_f32 v3, 0x3f4a47b2, v0
	v_mul_f32_e32 v19, 0x3d64c772, v23
	v_mul_f32_e32 v4, 0x3f4a47b2, v1
	v_dual_mul_f32 v20, 0xbf08b237, v25 :: v_dual_mul_f32 v23, 0xbf08b237, v26
	s_delay_alu instid0(VALU_DEP_4) | instskip(SKIP_4) | instid1(VALU_DEP_4)
	v_fmamk_f32 v28, v15, 0xbf955555, v6
	v_mul_f32_e32 v11, 0x3d64c772, v11
	v_dual_mul_f32 v24, 0x3f5ff5aa, v27 :: v_dual_mul_f32 v25, 0x3f5ff5aa, v8
	v_fmamk_f32 v26, v7, 0xbf955555, v5
	v_fmamk_f32 v0, v0, 0x3f4a47b2, v19
	;; [unrolled: 1-line block ×4, first 2 shown]
	v_fma_f32 v27, 0x3f5ff5aa, v27, -v20
	v_fma_f32 v8, 0x3f5ff5aa, v8, -v23
	;; [unrolled: 1-line block ×3, first 2 shown]
	v_add_f32_e32 v20, v1, v28
	v_fma_f32 v29, 0x3f3bfb3b, v22, -v11
	v_fma_f32 v22, 0xbf3bfb3b, v22, -v4
	v_fmamk_f32 v4, v10, 0x3eae86e6, v23
	v_fma_f32 v11, 0xbeae86e6, v9, -v24
	v_add_f32_e32 v10, v0, v26
	v_fma_f32 v19, 0x3f3bfb3b, v21, -v19
	v_fma_f32 v3, 0xbf3bfb3b, v21, -v3
	v_dual_add_f32 v22, v22, v28 :: v_dual_fmac_f32 v15, 0x3ee1c552, v18
	v_fmac_f32_e32 v11, 0x3ee1c552, v2
	s_delay_alu instid0(VALU_DEP_4) | instskip(SKIP_2) | instid1(VALU_DEP_1)
	v_add_f32_e32 v9, v19, v26
	v_fmac_f32_e32 v27, 0x3ee1c552, v2
	v_fmac_f32_e32 v8, 0x3ee1c552, v18
	v_dual_fmac_f32 v7, 0x3ee1c552, v2 :: v_dual_sub_f32 v0, v9, v8
	v_dual_add_f32 v2, v8, v9 :: v_dual_add_f32 v9, v22, v11
	v_dual_add_f32 v19, v29, v28 :: v_dual_fmac_f32 v4, 0x3ee1c552, v18
	v_add_f32_e32 v21, v3, v26
	s_delay_alu instid0(VALU_DEP_2) | instskip(NEXT) | instid1(VALU_DEP_3)
	v_add_f32_e32 v1, v19, v27
	v_dual_sub_f32 v3, v19, v27 :: v_dual_sub_f32 v18, v10, v4
	s_delay_alu instid0(VALU_DEP_3)
	v_sub_f32_e32 v8, v21, v15
	v_add_f32_e32 v19, v20, v7
	s_and_saveexec_b32 s0, vcc_lo
	s_cbranch_execz .LBB0_13
; %bb.12:
	v_dual_sub_f32 v22, v22, v11 :: v_dual_add_f32 v21, v15, v21
	v_sub_f32_e32 v11, v20, v7
	v_mad_u32_u24 v7, v14, 56, 0
	v_add_f32_e32 v10, v4, v10
	ds_store_b64 v7, v[5:6]
	ds_store_2addr_b64 v7, v[10:11], v[21:22] offset0:1 offset1:2
	ds_store_2addr_b64 v7, v[0:1], v[2:3] offset0:3 offset1:4
	;; [unrolled: 1-line block ×3, first 2 shown]
.LBB0_13:
	s_or_b32 exec_lo, exec_lo, s0
	v_lshl_add_u32 v15, v14, 3, 0
	s_waitcnt lgkmcnt(0)
	s_barrier
	buffer_gl0_inv
	v_cmp_gt_u32_e64 s0, 0x62, v14
	ds_load_2addr_b64 v[4:7], v15 offset1:245
	ds_load_b64 v[10:11], v15 offset:3920
	s_and_saveexec_b32 s4, s0
	s_cbranch_execz .LBB0_15
; %bb.14:
	v_add_nc_u32_e32 v0, 0x480, v15
	ds_load_2addr_b64 v[0:3], v0 offset0:3 offset1:248
	ds_load_b64 v[8:9], v15 offset:5096
.LBB0_15:
	s_or_b32 exec_lo, exec_lo, s4
	v_and_b32_e32 v20, 0xff, v14
	v_add_nc_u32_e32 v21, 0x93, v14
	s_delay_alu instid0(VALU_DEP_2) | instskip(NEXT) | instid1(VALU_DEP_2)
	v_mul_lo_u16 v22, v20, 37
	v_and_b32_e32 v23, 0xffff, v21
	s_delay_alu instid0(VALU_DEP_2) | instskip(NEXT) | instid1(VALU_DEP_2)
	v_lshrrev_b16 v22, 8, v22
	v_mul_u32_u24_e32 v23, 0x2493, v23
	s_delay_alu instid0(VALU_DEP_2) | instskip(NEXT) | instid1(VALU_DEP_2)
	v_sub_nc_u16 v24, v14, v22
	v_lshrrev_b32_e32 v23, 16, v23
	s_delay_alu instid0(VALU_DEP_2) | instskip(NEXT) | instid1(VALU_DEP_2)
	v_lshrrev_b16 v24, 1, v24
	v_sub_nc_u16 v25, v21, v23
	s_delay_alu instid0(VALU_DEP_2) | instskip(NEXT) | instid1(VALU_DEP_2)
	v_and_b32_e32 v24, 0x7f, v24
	v_lshrrev_b16 v25, 1, v25
	s_delay_alu instid0(VALU_DEP_2) | instskip(NEXT) | instid1(VALU_DEP_2)
	v_add_nc_u16 v22, v24, v22
	v_add_nc_u16 v23, v25, v23
	s_delay_alu instid0(VALU_DEP_2) | instskip(NEXT) | instid1(VALU_DEP_2)
	v_lshrrev_b16 v24, 2, v22
	v_lshrrev_b16 v22, 2, v23
	s_delay_alu instid0(VALU_DEP_2) | instskip(NEXT) | instid1(VALU_DEP_2)
	v_mul_lo_u16 v23, v24, 7
	v_mul_lo_u16 v22, v22, 7
	s_delay_alu instid0(VALU_DEP_2) | instskip(NEXT) | instid1(VALU_DEP_2)
	v_sub_nc_u16 v23, v14, v23
	v_sub_nc_u16 v22, v21, v22
	s_delay_alu instid0(VALU_DEP_2) | instskip(NEXT) | instid1(VALU_DEP_2)
	v_and_b32_e32 v23, 0xff, v23
	v_and_b32_e32 v22, 0xffff, v22
	s_delay_alu instid0(VALU_DEP_2) | instskip(NEXT) | instid1(VALU_DEP_2)
	v_lshlrev_b32_e32 v25, 4, v23
	v_lshlrev_b32_e32 v29, 4, v22
	s_clause 0x1
	global_load_b128 v[25:28], v25, s[8:9]
	global_load_b128 v[29:32], v29, s[8:9]
	s_load_b64 s[2:3], s[2:3], 0x0
	s_waitcnt vmcnt(0) lgkmcnt(0)
	s_barrier
	buffer_gl0_inv
	v_mul_f32_e32 v35, v28, v11
	v_dual_mul_f32 v28, v28, v10 :: v_dual_lshlrev_b32 v23, 3, v23
	v_mul_f32_e32 v34, v26, v7
	v_mul_f32_e32 v26, v26, v6
	s_delay_alu instid0(VALU_DEP_4) | instskip(SKIP_2) | instid1(VALU_DEP_2)
	v_fma_f32 v10, v27, v10, -v35
	v_and_b32_e32 v24, 0xffff, v24
	v_mul_f32_e32 v36, v3, v30
	v_mul_u32_u24_e32 v24, 0xa8, v24
	s_delay_alu instid0(VALU_DEP_1) | instskip(SKIP_4) | instid1(VALU_DEP_3)
	v_add3_u32 v33, 0, v24, v23
	v_mul_f32_e32 v24, v2, v30
	v_mul_f32_e32 v30, v9, v32
	;; [unrolled: 1-line block ×3, first 2 shown]
	v_fma_f32 v32, v25, v6, -v34
	v_fma_f32 v6, v8, v31, -v30
	v_fmac_f32_e32 v26, v25, v7
	v_fma_f32 v7, v2, v29, -v36
	v_fmac_f32_e32 v28, v27, v11
	v_dual_fmac_f32 v23, v9, v31 :: v_dual_add_f32 v2, v32, v4
	s_delay_alu instid0(VALU_DEP_3) | instskip(SKIP_4) | instid1(VALU_DEP_3)
	v_sub_f32_e32 v9, v7, v6
	v_add_f32_e32 v27, v7, v6
	v_add_f32_e32 v11, v26, v5
	v_dual_fmac_f32 v24, v3, v29 :: v_dual_sub_f32 v29, v26, v28
	v_dual_add_f32 v3, v32, v10 :: v_dual_add_f32 v26, v26, v28
	v_dual_sub_f32 v30, v32, v10 :: v_dual_add_f32 v11, v11, v28
	s_delay_alu instid0(VALU_DEP_3) | instskip(NEXT) | instid1(VALU_DEP_3)
	v_add_f32_e32 v31, v24, v23
	v_fma_f32 v25, -0.5, v3, v4
	v_sub_f32_e32 v8, v24, v23
	v_fma_f32 v26, -0.5, v26, v5
	v_fma_f32 v4, -0.5, v27, v0
	;; [unrolled: 1-line block ×3, first 2 shown]
	v_dual_fmamk_f32 v27, v29, 0x3f5db3d7, v25 :: v_dual_add_f32 v10, v2, v10
	s_delay_alu instid0(VALU_DEP_4) | instskip(NEXT) | instid1(VALU_DEP_3)
	v_dual_fmac_f32 v25, 0xbf5db3d7, v29 :: v_dual_fmamk_f32 v28, v30, 0xbf5db3d7, v26
	v_dual_fmac_f32 v26, 0x3f5db3d7, v30 :: v_dual_fmamk_f32 v3, v9, 0x3f5db3d7, v5
	v_fmamk_f32 v2, v8, 0xbf5db3d7, v4
	ds_store_2addr_b64 v33, v[10:11], v[27:28] offset1:7
	ds_store_b64 v33, v[25:26] offset:112
	s_and_saveexec_b32 s4, s0
	s_cbranch_execz .LBB0_17
; %bb.16:
	v_and_b32_e32 v10, 0xff, v21
	v_dual_mul_f32 v8, 0x3f5db3d7, v8 :: v_dual_mul_f32 v9, 0x3f5db3d7, v9
	v_add_f32_e32 v7, v0, v7
	s_delay_alu instid0(VALU_DEP_3) | instskip(NEXT) | instid1(VALU_DEP_3)
	v_mul_lo_u16 v10, v10, 37
	v_add_f32_e32 v0, v8, v4
	s_delay_alu instid0(VALU_DEP_3) | instskip(NEXT) | instid1(VALU_DEP_3)
	v_add_f32_e32 v4, v7, v6
	v_lshrrev_b16 v10, 8, v10
	s_delay_alu instid0(VALU_DEP_1) | instskip(SKIP_1) | instid1(VALU_DEP_2)
	v_sub_nc_u16 v11, v21, v10
	v_lshlrev_b32_e32 v21, 3, v22
	v_lshrrev_b16 v11, 1, v11
	s_delay_alu instid0(VALU_DEP_1) | instskip(NEXT) | instid1(VALU_DEP_1)
	v_and_b32_e32 v11, 0x7f, v11
	v_add_nc_u16 v10, v11, v10
	v_add_f32_e32 v11, v1, v24
	v_sub_f32_e32 v1, v5, v9
	s_delay_alu instid0(VALU_DEP_3) | instskip(NEXT) | instid1(VALU_DEP_1)
	v_lshrrev_b16 v10, 2, v10
	v_dual_add_f32 v5, v11, v23 :: v_dual_and_b32 v10, 0xffff, v10
	s_delay_alu instid0(VALU_DEP_1) | instskip(NEXT) | instid1(VALU_DEP_1)
	v_mul_u32_u24_e32 v10, 0xa8, v10
	v_add3_u32 v6, 0, v10, v21
	ds_store_2addr_b64 v6, v[4:5], v[0:1] offset1:7
	ds_store_b64 v6, v[2:3] offset:112
.LBB0_17:
	s_or_b32 exec_lo, exec_lo, s4
	v_mul_lo_u16 v0, 0x87, v20
	s_waitcnt lgkmcnt(0)
	s_barrier
	buffer_gl0_inv
	v_add_nc_u32_e32 v21, 0x400, v15
	v_lshrrev_b16 v0, 8, v0
	s_delay_alu instid0(VALU_DEP_1) | instskip(NEXT) | instid1(VALU_DEP_1)
	v_sub_nc_u16 v1, v14, v0
	v_lshrrev_b16 v1, 1, v1
	s_delay_alu instid0(VALU_DEP_1) | instskip(NEXT) | instid1(VALU_DEP_1)
	v_and_b32_e32 v1, 0x7f, v1
	v_add_nc_u16 v0, v1, v0
	s_delay_alu instid0(VALU_DEP_1) | instskip(NEXT) | instid1(VALU_DEP_1)
	v_lshrrev_b16 v0, 4, v0
	v_and_b32_e32 v0, 15, v0
	s_delay_alu instid0(VALU_DEP_1) | instskip(NEXT) | instid1(VALU_DEP_1)
	v_mul_lo_u16 v1, v0, 21
	v_sub_nc_u16 v1, v14, v1
	s_delay_alu instid0(VALU_DEP_1) | instskip(NEXT) | instid1(VALU_DEP_1)
	v_and_b32_e32 v1, 0xff, v1
	v_lshlrev_b32_e32 v8, 5, v1
	s_clause 0x1
	global_load_b128 v[4:7], v8, s[8:9] offset:112
	global_load_b128 v[22:25], v8, s[8:9] offset:128
	v_add_nc_u32_e32 v20, 0xc00, v15
	ds_load_2addr_b64 v[26:29], v21 offset0:19 offset1:166
	ds_load_2addr_b64 v[30:33], v20 offset0:57 offset1:204
	v_and_b32_e32 v0, 0xffff, v0
	ds_load_2addr_b32 v[10:11], v15 offset1:1
	s_waitcnt vmcnt(0) lgkmcnt(0)
	s_barrier
	buffer_gl0_inv
	v_mul_f32_e32 v9, v23, v30
	v_mul_u32_u24_e32 v0, 0x348, v0
	v_dual_mul_f32 v8, v23, v31 :: v_dual_lshlrev_b32 v1, 3, v1
	s_delay_alu instid0(VALU_DEP_3) | instskip(NEXT) | instid1(VALU_DEP_2)
	v_fmac_f32_e32 v9, v22, v31
	v_add3_u32 v34, 0, v0, v1
	v_mul_f32_e32 v0, v5, v27
	v_mul_f32_e32 v1, v5, v26
	;; [unrolled: 1-line block ×4, first 2 shown]
	s_delay_alu instid0(VALU_DEP_4) | instskip(SKIP_1) | instid1(VALU_DEP_3)
	v_fma_f32 v0, v4, v26, -v0
	v_mul_f32_e32 v23, v25, v33
	v_fmac_f32_e32 v7, v6, v29
	v_fmac_f32_e32 v1, v4, v27
	v_fma_f32 v4, v6, v28, -v5
	v_fma_f32 v5, v22, v30, -v8
	v_mul_f32_e32 v25, v25, v32
	v_fma_f32 v22, v24, v32, -v23
	v_add_f32_e32 v6, v0, v10
	v_sub_f32_e32 v26, v0, v4
	v_add_f32_e32 v8, v4, v5
	s_delay_alu instid0(VALU_DEP_4) | instskip(SKIP_2) | instid1(VALU_DEP_3)
	v_dual_sub_f32 v30, v5, v22 :: v_dual_fmac_f32 v25, v24, v33
	v_sub_f32_e32 v24, v7, v9
	v_sub_f32_e32 v36, v1, v7
	v_dual_add_f32 v28, v0, v22 :: v_dual_sub_f32 v23, v1, v25
	v_dual_add_f32 v38, v1, v25 :: v_dual_sub_f32 v29, v4, v0
	v_dual_add_f32 v32, v7, v9 :: v_dual_sub_f32 v33, v0, v22
	v_sub_f32_e32 v40, v9, v25
	v_fma_f32 v0, -0.5, v8, v10
	v_sub_f32_e32 v27, v22, v5
	v_dual_sub_f32 v35, v4, v5 :: v_dual_add_f32 v4, v6, v4
	v_fma_f32 v10, -0.5, v28, v10
	s_delay_alu instid0(VALU_DEP_4) | instskip(SKIP_3) | instid1(VALU_DEP_4)
	v_fmamk_f32 v6, v23, 0x3f737871, v0
	v_dual_fmac_f32 v0, 0xbf737871, v23 :: v_dual_add_f32 v31, v11, v1
	v_dual_add_f32 v26, v26, v27 :: v_dual_sub_f32 v39, v7, v1
	v_fma_f32 v1, -0.5, v32, v11
	v_dual_fmac_f32 v11, -0.5, v38 :: v_dual_fmac_f32 v6, 0x3f167918, v24
	s_delay_alu instid0(VALU_DEP_4) | instskip(SKIP_1) | instid1(VALU_DEP_2)
	v_dual_add_f32 v7, v31, v7 :: v_dual_add_f32 v4, v4, v5
	v_dual_sub_f32 v37, v25, v9 :: v_dual_fmamk_f32 v8, v24, 0xbf737871, v10
	v_dual_fmac_f32 v10, 0x3f737871, v24 :: v_dual_add_f32 v5, v7, v9
	v_fmac_f32_e32 v0, 0xbf167918, v24
	v_fmamk_f32 v7, v33, 0xbf737871, v1
	v_fmac_f32_e32 v1, 0x3f737871, v33
	v_fmamk_f32 v9, v35, 0x3f737871, v11
	v_fmac_f32_e32 v11, 0xbf737871, v35
	v_dual_add_f32 v27, v29, v30 :: v_dual_add_f32 v28, v36, v37
	v_dual_add_f32 v29, v39, v40 :: v_dual_add_f32 v4, v4, v22
	v_dual_fmac_f32 v8, 0x3f167918, v23 :: v_dual_add_f32 v5, v5, v25
	v_dual_fmac_f32 v10, 0xbf167918, v23 :: v_dual_fmac_f32 v9, 0xbf167918, v33
	v_fmac_f32_e32 v7, 0xbf167918, v35
	v_fmac_f32_e32 v1, 0x3f167918, v35
	;; [unrolled: 1-line block ×4, first 2 shown]
	v_dual_fmac_f32 v0, 0x3e9e377a, v26 :: v_dual_fmac_f32 v9, 0x3e9e377a, v29
	s_delay_alu instid0(VALU_DEP_3)
	v_dual_fmac_f32 v8, 0x3e9e377a, v27 :: v_dual_fmac_f32 v11, 0x3e9e377a, v29
	v_dual_fmac_f32 v10, 0x3e9e377a, v27 :: v_dual_fmac_f32 v1, 0x3e9e377a, v28
	v_fmac_f32_e32 v7, 0x3e9e377a, v28
	ds_store_2addr_b64 v34, v[4:5], v[6:7] offset1:21
	ds_store_2addr_b64 v34, v[8:9], v[10:11] offset0:42 offset1:63
	ds_store_b64 v34, v[0:1] offset:672
	s_waitcnt lgkmcnt(0)
	s_barrier
	buffer_gl0_inv
	s_and_saveexec_b32 s0, vcc_lo
	s_cbranch_execnz .LBB0_20
; %bb.18:
	s_or_b32 exec_lo, exec_lo, s0
	s_and_saveexec_b32 s0, s1
	s_cbranch_execnz .LBB0_21
.LBB0_19:
	s_endpgm
.LBB0_20:
	ds_load_2addr_b64 v[4:7], v15 offset1:105
	ds_load_2addr_b64 v[8:11], v21 offset0:82 offset1:187
	ds_load_2addr_b64 v[0:3], v20 offset0:36 offset1:141
	ds_load_b64 v[18:19], v15 offset:5040
	s_or_b32 exec_lo, exec_lo, s0
	s_and_saveexec_b32 s0, s1
	s_cbranch_execz .LBB0_19
.LBB0_21:
	v_mul_u32_u24_e32 v15, 6, v14
	v_mul_lo_u32 v17, s2, v17
	v_mad_u64_u32 v[32:33], null, s2, v16, 0
	v_lshlrev_b64 v[12:13], 3, v[12:13]
	s_delay_alu instid0(VALU_DEP_4)
	v_lshlrev_b32_e32 v15, 3, v15
	s_clause 0x2
	global_load_b128 v[20:23], v15, s[8:9] offset:784
	global_load_b128 v[24:27], v15, s[8:9] offset:816
	;; [unrolled: 1-line block ×3, first 2 shown]
	v_mul_lo_u32 v15, s3, v16
	s_delay_alu instid0(VALU_DEP_1) | instskip(SKIP_1) | instid1(VALU_DEP_2)
	v_add3_u32 v33, v33, v17, v15
	v_mov_b32_e32 v15, 0
	v_lshlrev_b64 v[16:17], 3, v[32:33]
	s_delay_alu instid0(VALU_DEP_1) | instskip(NEXT) | instid1(VALU_DEP_2)
	v_add_co_u32 v16, vcc_lo, s6, v16
	v_add_co_ci_u32_e32 v17, vcc_lo, s7, v17, vcc_lo
	s_delay_alu instid0(VALU_DEP_2) | instskip(NEXT) | instid1(VALU_DEP_2)
	v_add_co_u32 v12, vcc_lo, v16, v12
	v_add_co_ci_u32_e32 v13, vcc_lo, v17, v13, vcc_lo
	s_waitcnt vmcnt(2) lgkmcnt(3)
	v_mul_f32_e32 v16, v7, v21
	s_waitcnt lgkmcnt(2)
	v_mul_f32_e32 v34, v9, v23
	s_waitcnt vmcnt(0) lgkmcnt(1)
	v_dual_mul_f32 v32, v1, v31 :: v_dual_mul_f32 v33, v11, v29
	v_mul_f32_e32 v23, v8, v23
	v_mul_f32_e32 v29, v10, v29
	v_lshlrev_b64 v[14:15], 3, v[14:15]
	v_fma_f32 v8, v8, v22, -v34
	v_fma_f32 v10, v10, v28, -v33
	v_fmac_f32_e32 v23, v9, v22
	v_mul_f32_e32 v31, v0, v31
	v_fma_f32 v0, v0, v30, -v32
	v_mul_f32_e32 v35, v3, v25
	v_mul_f32_e32 v25, v2, v25
	v_add_co_u32 v12, vcc_lo, v12, v14
	v_fmac_f32_e32 v31, v1, v30
	v_add_co_ci_u32_e32 v13, vcc_lo, v13, v15, vcc_lo
	s_delay_alu instid0(VALU_DEP_4)
	v_fmac_f32_e32 v25, v3, v24
	v_sub_f32_e32 v3, v0, v10
	v_mul_f32_e32 v21, v6, v21
	v_fma_f32 v6, v6, v20, -v16
	s_waitcnt lgkmcnt(0)
	v_dual_mul_f32 v17, v19, v27 :: v_dual_add_f32 v0, v0, v10
	v_fma_f32 v2, v2, v24, -v35
	v_mul_f32_e32 v27, v18, v27
	v_add_co_u32 v14, vcc_lo, 0x1000, v12
	s_delay_alu instid0(VALU_DEP_4) | instskip(SKIP_2) | instid1(VALU_DEP_3)
	v_fma_f32 v16, v18, v26, -v17
	v_add_f32_e32 v17, v23, v25
	v_add_co_ci_u32_e32 v15, vcc_lo, 0, v13, vcc_lo
	v_sub_f32_e32 v1, v6, v16
	v_add_f32_e32 v6, v6, v16
	v_sub_f32_e32 v16, v23, v25
	s_delay_alu instid0(VALU_DEP_3) | instskip(SKIP_3) | instid1(VALU_DEP_2)
	v_dual_sub_f32 v18, v1, v3 :: v_dual_fmac_f32 v21, v7, v20
	v_sub_f32_e32 v7, v8, v2
	v_add_f32_e32 v2, v8, v2
	v_fmac_f32_e32 v27, v19, v26
	v_dual_sub_f32 v23, v6, v0 :: v_dual_sub_f32 v24, v0, v2
	v_add_f32_e32 v25, v6, v2
	s_delay_alu instid0(VALU_DEP_3) | instskip(NEXT) | instid1(VALU_DEP_1)
	v_dual_add_f32 v9, v21, v27 :: v_dual_sub_f32 v2, v2, v6
	v_add_f32_e32 v22, v9, v17
	v_dual_sub_f32 v8, v21, v27 :: v_dual_fmac_f32 v29, v11, v28
	s_delay_alu instid0(VALU_DEP_1) | instskip(NEXT) | instid1(VALU_DEP_2)
	v_sub_f32_e32 v6, v16, v8
	v_sub_f32_e32 v10, v31, v29
	s_delay_alu instid0(VALU_DEP_1) | instskip(SKIP_1) | instid1(VALU_DEP_1)
	v_dual_sub_f32 v26, v8, v10 :: v_dual_sub_f32 v27, v10, v16
	v_dual_add_f32 v10, v10, v16 :: v_dual_add_f32 v11, v31, v29
	v_add_f32_e32 v8, v8, v10
	s_delay_alu instid0(VALU_DEP_2) | instskip(SKIP_2) | instid1(VALU_DEP_1)
	v_dual_sub_f32 v20, v9, v11 :: v_dual_sub_f32 v21, v11, v17
	v_dual_add_f32 v11, v11, v22 :: v_dual_mul_f32 v22, 0x3d64c772, v24
	v_dual_add_f32 v24, v0, v25 :: v_dual_sub_f32 v19, v3, v7
	v_add_f32_e32 v0, v4, v24
	s_delay_alu instid0(VALU_DEP_2) | instskip(SKIP_1) | instid1(VALU_DEP_2)
	v_mul_f32_e32 v16, 0xbf08b237, v19
	v_mul_f32_e32 v19, 0x3d64c772, v21
	v_dual_fmamk_f32 v28, v18, 0x3eae86e6, v16 :: v_dual_add_f32 v3, v3, v7
	v_sub_f32_e32 v7, v7, v1
	s_delay_alu instid0(VALU_DEP_1) | instskip(NEXT) | instid1(VALU_DEP_4)
	v_dual_mul_f32 v10, 0x3f5ff5aa, v7 :: v_dual_sub_f32 v9, v17, v9
	v_dual_mul_f32 v17, 0x3f4a47b2, v20 :: v_dual_fmamk_f32 v20, v20, 0x3f4a47b2, v19
	s_delay_alu instid0(VALU_DEP_4) | instskip(SKIP_1) | instid1(VALU_DEP_4)
	v_add_f32_e32 v3, v1, v3
	v_fma_f32 v16, 0x3f5ff5aa, v7, -v16
	v_fma_f32 v10, 0xbeae86e6, v18, -v10
	s_delay_alu instid0(VALU_DEP_2) | instskip(SKIP_2) | instid1(VALU_DEP_4)
	v_fmac_f32_e32 v16, 0x3ee1c552, v3
	v_mul_f32_e32 v25, 0xbf08b237, v27
	v_mul_f32_e32 v27, 0x3f5ff5aa, v6
	v_fmac_f32_e32 v10, 0x3ee1c552, v3
	s_delay_alu instid0(VALU_DEP_3) | instskip(NEXT) | instid1(VALU_DEP_3)
	v_fma_f32 v6, 0x3f5ff5aa, v6, -v25
	v_fma_f32 v18, 0xbeae86e6, v26, -v27
	s_delay_alu instid0(VALU_DEP_2)
	v_dual_fmac_f32 v6, 0x3ee1c552, v8 :: v_dual_add_f32 v1, v5, v11
	v_mul_f32_e32 v21, 0x3f4a47b2, v23
	v_fmamk_f32 v5, v23, 0x3f4a47b2, v22
	v_fmamk_f32 v23, v26, 0x3eae86e6, v25
	v_fmac_f32_e32 v18, 0x3ee1c552, v8
	v_fmamk_f32 v7, v11, 0xbf955555, v1
	s_delay_alu instid0(VALU_DEP_3) | instskip(SKIP_1) | instid1(VALU_DEP_3)
	v_fmac_f32_e32 v23, 0x3ee1c552, v8
	v_fmamk_f32 v11, v24, 0xbf955555, v0
	v_add_f32_e32 v8, v20, v7
	v_fma_f32 v4, 0xbf3bfb3b, v9, -v17
	v_fma_f32 v17, 0xbf3bfb3b, v2, -v21
	;; [unrolled: 1-line block ×3, first 2 shown]
	s_delay_alu instid0(VALU_DEP_3) | instskip(NEXT) | instid1(VALU_DEP_2)
	v_add_f32_e32 v20, v4, v7
	v_add_f32_e32 v22, v2, v11
	v_fma_f32 v9, 0x3f3bfb3b, v9, -v19
	v_add_f32_e32 v19, v5, v11
	s_delay_alu instid0(VALU_DEP_4) | instskip(NEXT) | instid1(VALU_DEP_3)
	v_add_f32_e32 v5, v10, v20
	v_add_f32_e32 v9, v9, v7
	s_delay_alu instid0(VALU_DEP_1) | instskip(SKIP_2) | instid1(VALU_DEP_1)
	v_dual_sub_f32 v2, v19, v23 :: v_dual_sub_f32 v7, v9, v16
	v_dual_add_f32 v9, v16, v9 :: v_dual_add_f32 v16, v23, v19
	v_add_f32_e32 v21, v17, v11
	v_dual_sub_f32 v11, v20, v10 :: v_dual_add_f32 v10, v18, v21
	v_fmac_f32_e32 v28, 0x3ee1c552, v3
	s_delay_alu instid0(VALU_DEP_1)
	v_dual_sub_f32 v4, v21, v18 :: v_dual_sub_f32 v17, v8, v28
	v_dual_add_f32 v3, v28, v8 :: v_dual_sub_f32 v8, v22, v6
	v_add_f32_e32 v6, v6, v22
	s_clause 0x6
	global_store_b64 v[12:13], v[0:1], off
	global_store_b64 v[12:13], v[16:17], off offset:840
	global_store_b64 v[12:13], v[10:11], off offset:1680
	;; [unrolled: 1-line block ×6, first 2 shown]
	s_nop 0
	s_sendmsg sendmsg(MSG_DEALLOC_VGPRS)
	s_endpgm
	.section	.rodata,"a",@progbits
	.p2align	6, 0x0
	.amdhsa_kernel fft_rtc_fwd_len735_factors_7_3_5_7_wgs_147_tpt_147_sp_op_CI_CI_unitstride_sbrr_dirReg
		.amdhsa_group_segment_fixed_size 0
		.amdhsa_private_segment_fixed_size 0
		.amdhsa_kernarg_size 104
		.amdhsa_user_sgpr_count 15
		.amdhsa_user_sgpr_dispatch_ptr 0
		.amdhsa_user_sgpr_queue_ptr 0
		.amdhsa_user_sgpr_kernarg_segment_ptr 1
		.amdhsa_user_sgpr_dispatch_id 0
		.amdhsa_user_sgpr_private_segment_size 0
		.amdhsa_wavefront_size32 1
		.amdhsa_uses_dynamic_stack 0
		.amdhsa_enable_private_segment 0
		.amdhsa_system_sgpr_workgroup_id_x 1
		.amdhsa_system_sgpr_workgroup_id_y 0
		.amdhsa_system_sgpr_workgroup_id_z 0
		.amdhsa_system_sgpr_workgroup_info 0
		.amdhsa_system_vgpr_workitem_id 0
		.amdhsa_next_free_vgpr 41
		.amdhsa_next_free_sgpr 27
		.amdhsa_reserve_vcc 1
		.amdhsa_float_round_mode_32 0
		.amdhsa_float_round_mode_16_64 0
		.amdhsa_float_denorm_mode_32 3
		.amdhsa_float_denorm_mode_16_64 3
		.amdhsa_dx10_clamp 1
		.amdhsa_ieee_mode 1
		.amdhsa_fp16_overflow 0
		.amdhsa_workgroup_processor_mode 1
		.amdhsa_memory_ordered 1
		.amdhsa_forward_progress 0
		.amdhsa_shared_vgpr_count 0
		.amdhsa_exception_fp_ieee_invalid_op 0
		.amdhsa_exception_fp_denorm_src 0
		.amdhsa_exception_fp_ieee_div_zero 0
		.amdhsa_exception_fp_ieee_overflow 0
		.amdhsa_exception_fp_ieee_underflow 0
		.amdhsa_exception_fp_ieee_inexact 0
		.amdhsa_exception_int_div_zero 0
	.end_amdhsa_kernel
	.text
.Lfunc_end0:
	.size	fft_rtc_fwd_len735_factors_7_3_5_7_wgs_147_tpt_147_sp_op_CI_CI_unitstride_sbrr_dirReg, .Lfunc_end0-fft_rtc_fwd_len735_factors_7_3_5_7_wgs_147_tpt_147_sp_op_CI_CI_unitstride_sbrr_dirReg
                                        ; -- End function
	.section	.AMDGPU.csdata,"",@progbits
; Kernel info:
; codeLenInByte = 4648
; NumSgprs: 29
; NumVgprs: 41
; ScratchSize: 0
; MemoryBound: 0
; FloatMode: 240
; IeeeMode: 1
; LDSByteSize: 0 bytes/workgroup (compile time only)
; SGPRBlocks: 3
; VGPRBlocks: 5
; NumSGPRsForWavesPerEU: 29
; NumVGPRsForWavesPerEU: 41
; Occupancy: 15
; WaveLimiterHint : 1
; COMPUTE_PGM_RSRC2:SCRATCH_EN: 0
; COMPUTE_PGM_RSRC2:USER_SGPR: 15
; COMPUTE_PGM_RSRC2:TRAP_HANDLER: 0
; COMPUTE_PGM_RSRC2:TGID_X_EN: 1
; COMPUTE_PGM_RSRC2:TGID_Y_EN: 0
; COMPUTE_PGM_RSRC2:TGID_Z_EN: 0
; COMPUTE_PGM_RSRC2:TIDIG_COMP_CNT: 0
	.text
	.p2alignl 7, 3214868480
	.fill 96, 4, 3214868480
	.type	__hip_cuid_13e712f2e7b72305,@object ; @__hip_cuid_13e712f2e7b72305
	.section	.bss,"aw",@nobits
	.globl	__hip_cuid_13e712f2e7b72305
__hip_cuid_13e712f2e7b72305:
	.byte	0                               ; 0x0
	.size	__hip_cuid_13e712f2e7b72305, 1

	.ident	"AMD clang version 19.0.0git (https://github.com/RadeonOpenCompute/llvm-project roc-6.4.0 25133 c7fe45cf4b819c5991fe208aaa96edf142730f1d)"
	.section	".note.GNU-stack","",@progbits
	.addrsig
	.addrsig_sym __hip_cuid_13e712f2e7b72305
	.amdgpu_metadata
---
amdhsa.kernels:
  - .args:
      - .actual_access:  read_only
        .address_space:  global
        .offset:         0
        .size:           8
        .value_kind:     global_buffer
      - .offset:         8
        .size:           8
        .value_kind:     by_value
      - .actual_access:  read_only
        .address_space:  global
        .offset:         16
        .size:           8
        .value_kind:     global_buffer
      - .actual_access:  read_only
        .address_space:  global
        .offset:         24
        .size:           8
        .value_kind:     global_buffer
      - .actual_access:  read_only
        .address_space:  global
        .offset:         32
        .size:           8
        .value_kind:     global_buffer
      - .offset:         40
        .size:           8
        .value_kind:     by_value
      - .actual_access:  read_only
        .address_space:  global
        .offset:         48
        .size:           8
        .value_kind:     global_buffer
      - .actual_access:  read_only
        .address_space:  global
        .offset:         56
        .size:           8
        .value_kind:     global_buffer
      - .offset:         64
        .size:           4
        .value_kind:     by_value
      - .actual_access:  read_only
        .address_space:  global
        .offset:         72
        .size:           8
        .value_kind:     global_buffer
      - .actual_access:  read_only
        .address_space:  global
        .offset:         80
        .size:           8
        .value_kind:     global_buffer
      - .actual_access:  read_only
        .address_space:  global
        .offset:         88
        .size:           8
        .value_kind:     global_buffer
      - .actual_access:  write_only
        .address_space:  global
        .offset:         96
        .size:           8
        .value_kind:     global_buffer
    .group_segment_fixed_size: 0
    .kernarg_segment_align: 8
    .kernarg_segment_size: 104
    .language:       OpenCL C
    .language_version:
      - 2
      - 0
    .max_flat_workgroup_size: 147
    .name:           fft_rtc_fwd_len735_factors_7_3_5_7_wgs_147_tpt_147_sp_op_CI_CI_unitstride_sbrr_dirReg
    .private_segment_fixed_size: 0
    .sgpr_count:     29
    .sgpr_spill_count: 0
    .symbol:         fft_rtc_fwd_len735_factors_7_3_5_7_wgs_147_tpt_147_sp_op_CI_CI_unitstride_sbrr_dirReg.kd
    .uniform_work_group_size: 1
    .uses_dynamic_stack: false
    .vgpr_count:     41
    .vgpr_spill_count: 0
    .wavefront_size: 32
    .workgroup_processor_mode: 1
amdhsa.target:   amdgcn-amd-amdhsa--gfx1100
amdhsa.version:
  - 1
  - 2
...

	.end_amdgpu_metadata
